;; amdgpu-corpus repo=ROCm/rocFFT kind=compiled arch=gfx906 opt=O3
	.text
	.amdgcn_target "amdgcn-amd-amdhsa--gfx906"
	.amdhsa_code_object_version 6
	.protected	bluestein_single_back_len175_dim1_dp_op_CI_CI ; -- Begin function bluestein_single_back_len175_dim1_dp_op_CI_CI
	.globl	bluestein_single_back_len175_dim1_dp_op_CI_CI
	.p2align	8
	.type	bluestein_single_back_len175_dim1_dp_op_CI_CI,@function
bluestein_single_back_len175_dim1_dp_op_CI_CI: ; @bluestein_single_back_len175_dim1_dp_op_CI_CI
; %bb.0:
	v_mul_u32_u24_e32 v1, 0x751, v0
	s_load_dwordx4 s[8:11], s[4:5], 0x28
	v_lshrrev_b32_e32 v1, 16, v1
	v_mad_u64_u32 v[88:89], s[0:1], s6, 7, v[1:2]
	v_mov_b32_e32 v89, 0
	s_waitcnt lgkmcnt(0)
	v_cmp_gt_u64_e32 vcc, s[8:9], v[88:89]
	s_and_saveexec_b64 s[0:1], vcc
	s_cbranch_execz .LBB0_10
; %bb.1:
	s_load_dwordx4 s[0:3], s[4:5], 0x18
	s_load_dwordx4 s[12:15], s[4:5], 0x0
	v_mul_lo_u16_e32 v1, 35, v1
	v_sub_u16_e32 v115, v0, v1
	v_lshlrev_b32_e32 v118, 4, v115
	s_waitcnt lgkmcnt(0)
	s_load_dwordx4 s[16:19], s[0:1], 0x0
	s_mov_b32 s21, 0xbfee6f0e
	s_mov_b32 s6, 0x372fe950
	;; [unrolled: 1-line block ×3, first 2 shown]
	v_mov_b32_e32 v74, s13
	s_waitcnt lgkmcnt(0)
	v_mad_u64_u32 v[0:1], s[0:1], s18, v88, 0
	v_mad_u64_u32 v[2:3], s[0:1], s16, v115, 0
	v_mad_u64_u32 v[4:5], s[0:1], s19, v88, v[1:2]
	s_mov_b32 s19, 0xbfe2cf23
	v_mad_u64_u32 v[5:6], s[0:1], s17, v115, v[3:4]
	v_mov_b32_e32 v1, v4
	v_lshlrev_b64 v[0:1], 4, v[0:1]
	v_mov_b32_e32 v6, s11
	v_mov_b32_e32 v3, v5
	v_add_co_u32_e32 v4, vcc, s10, v0
	v_addc_co_u32_e32 v5, vcc, v6, v1, vcc
	v_lshlrev_b64 v[0:1], 4, v[2:3]
	s_mul_i32 s0, s17, 0x230
	v_add_co_u32_e32 v0, vcc, v4, v0
	s_mul_hi_u32 s1, s16, 0x230
	v_addc_co_u32_e32 v1, vcc, v5, v1, vcc
	s_add_i32 s0, s1, s0
	s_mul_i32 s1, s16, 0x230
	global_load_dwordx4 v[20:23], v[0:1], off
	v_mov_b32_e32 v2, s0
	v_add_co_u32_e32 v0, vcc, s1, v0
	v_addc_co_u32_e32 v1, vcc, v1, v2, vcc
	v_mov_b32_e32 v3, s0
	v_add_co_u32_e32 v2, vcc, s1, v0
	v_addc_co_u32_e32 v3, vcc, v1, v3, vcc
	global_load_dwordx4 v[16:19], v118, s[12:13]
	global_load_dwordx4 v[8:11], v118, s[12:13] offset:560
	global_load_dwordx4 v[24:27], v[0:1], off
	global_load_dwordx4 v[28:31], v[2:3], off
	v_mov_b32_e32 v0, s0
	v_add_co_u32_e32 v40, vcc, s1, v2
	v_addc_co_u32_e32 v41, vcc, v3, v0, vcc
	global_load_dwordx4 v[12:15], v118, s[12:13] offset:1120
	global_load_dwordx4 v[0:3], v118, s[12:13] offset:1680
	v_mov_b32_e32 v4, s0
	v_add_co_u32_e32 v42, vcc, s1, v40
	v_addc_co_u32_e32 v43, vcc, v41, v4, vcc
	global_load_dwordx4 v[32:35], v[40:41], off
	global_load_dwordx4 v[4:7], v118, s[12:13] offset:2240
	global_load_dwordx4 v[36:39], v[42:43], off
	s_mov_b32 s0, 0x24924925
	v_mul_hi_u32 v40, v88, s0
	s_load_dwordx4 s[8:11], s[2:3], 0x0
	s_mov_b32 s16, 0x134454ff
	s_mov_b32 s17, 0x3fee6f0e
	v_sub_u32_e32 v41, v88, v40
	v_lshrrev_b32_e32 v41, 1, v41
	v_add_u32_e32 v40, v41, v40
	v_lshrrev_b32_e32 v40, 2, v40
	v_mul_lo_u32 v40, v40, 7
	s_mov_b32 s20, s16
	s_mov_b32 s0, 0x4755a5e
	;; [unrolled: 1-line block ×3, first 2 shown]
	v_sub_u32_e32 v60, v88, v40
	s_mov_b32 s18, s0
	s_movk_i32 s2, 0xcd
	v_add_co_u32_e32 v89, vcc, s12, v118
	v_addc_co_u32_e32 v90, vcc, 0, v74, vcc
	v_cmp_gt_u16_e32 vcc, 25, v115
	s_waitcnt vmcnt(8)
	v_mul_f64 v[40:41], v[22:23], v[18:19]
	v_mul_f64 v[42:43], v[20:21], v[18:19]
	s_waitcnt vmcnt(6)
	v_mul_f64 v[44:45], v[26:27], v[10:11]
	v_mul_f64 v[46:47], v[24:25], v[10:11]
	s_waitcnt vmcnt(4)
	v_mul_f64 v[48:49], v[30:31], v[14:15]
	v_mul_f64 v[50:51], v[28:29], v[14:15]
	v_fma_f64 v[20:21], v[20:21], v[16:17], v[40:41]
	v_fma_f64 v[22:23], v[22:23], v[16:17], -v[42:43]
	v_fma_f64 v[24:25], v[24:25], v[8:9], v[44:45]
	s_waitcnt vmcnt(2)
	v_mul_f64 v[52:53], v[34:35], v[2:3]
	v_mul_f64 v[54:55], v[32:33], v[2:3]
	s_waitcnt vmcnt(0)
	v_mul_f64 v[56:57], v[38:39], v[6:7]
	v_mul_f64 v[58:59], v[36:37], v[6:7]
	v_fma_f64 v[26:27], v[26:27], v[8:9], -v[46:47]
	v_fma_f64 v[28:29], v[28:29], v[12:13], v[48:49]
	v_fma_f64 v[30:31], v[30:31], v[12:13], -v[50:51]
	v_mul_u32_u24_e32 v40, 0xaf, v60
	v_fma_f64 v[32:33], v[32:33], v[0:1], v[52:53]
	v_fma_f64 v[34:35], v[34:35], v[0:1], -v[54:55]
	v_fma_f64 v[36:37], v[36:37], v[4:5], v[56:57]
	v_fma_f64 v[38:39], v[38:39], v[4:5], -v[58:59]
	v_lshlrev_b32_e32 v117, 4, v40
	v_add_u32_e32 v116, v118, v117
	ds_write_b128 v116, v[20:23]
	ds_write_b128 v116, v[24:27] offset:560
	ds_write_b128 v116, v[28:31] offset:1120
	;; [unrolled: 1-line block ×4, first 2 shown]
	s_waitcnt lgkmcnt(0)
	s_barrier
	ds_read_b128 v[20:23], v116
	ds_read_b128 v[24:27], v116 offset:560
	ds_read_b128 v[28:31], v116 offset:1120
	;; [unrolled: 1-line block ×4, first 2 shown]
	s_waitcnt lgkmcnt(0)
	v_add_f64 v[40:41], v[20:21], v[24:25]
	v_add_f64 v[48:49], v[24:25], -v[28:29]
	v_add_f64 v[42:43], v[28:29], v[32:33]
	v_add_f64 v[50:51], v[36:37], -v[32:33]
	v_add_f64 v[58:59], v[22:23], v[26:27]
	v_add_f64 v[60:61], v[30:31], v[34:35]
	;; [unrolled: 1-line block ×4, first 2 shown]
	v_add_f64 v[44:45], v[26:27], -v[38:39]
	v_add_f64 v[46:47], v[30:31], -v[34:35]
	;; [unrolled: 1-line block ×8, first 2 shown]
	v_add_f64 v[28:29], v[40:41], v[28:29]
	v_fma_f64 v[40:41], v[42:43], -0.5, v[20:21]
	v_add_f64 v[42:43], v[48:49], v[50:51]
	v_add_f64 v[30:31], v[58:59], v[30:31]
	v_fma_f64 v[50:51], v[60:61], -0.5, v[22:23]
	v_add_f64 v[56:57], v[32:33], -v[36:37]
	v_fma_f64 v[20:21], v[52:53], -0.5, v[20:21]
	v_fma_f64 v[22:23], v[68:69], -0.5, v[22:23]
	v_add_f64 v[70:71], v[34:35], -v[38:39]
	v_add_f64 v[52:53], v[24:25], v[66:67]
	v_fma_f64 v[24:25], v[44:45], s[16:17], v[40:41]
	v_add_f64 v[30:31], v[30:31], v[34:35]
	v_fma_f64 v[34:35], v[62:63], s[20:21], v[50:51]
	v_add_f64 v[48:49], v[54:55], v[56:57]
	v_add_f64 v[28:29], v[28:29], v[32:33]
	v_fma_f64 v[32:33], v[44:45], s[20:21], v[40:41]
	v_fma_f64 v[40:41], v[46:47], s[20:21], v[20:21]
	;; [unrolled: 1-line block ×8, first 2 shown]
	v_add_f64 v[20:21], v[28:29], v[36:37]
	v_fma_f64 v[28:29], v[46:47], s[18:19], v[32:33]
	v_fma_f64 v[32:33], v[44:45], s[0:1], v[40:41]
	;; [unrolled: 1-line block ×4, first 2 shown]
	v_add_f64 v[46:47], v[26:27], v[70:71]
	v_fma_f64 v[40:41], v[64:65], s[0:1], v[50:51]
	v_fma_f64 v[50:51], v[62:63], s[0:1], v[22:23]
	v_add_f64 v[22:23], v[30:31], v[38:39]
	v_fma_f64 v[24:25], v[42:43], s[6:7], v[24:25]
	v_fma_f64 v[26:27], v[52:53], s[6:7], v[34:35]
	;; [unrolled: 1-line block ×8, first 2 shown]
	v_mul_lo_u16_e32 v40, 5, v115
	v_lshl_add_u32 v119, v40, 4, v117
	s_barrier
	ds_write_b128 v119, v[20:23]
	ds_write_b128 v119, v[24:27] offset:16
	ds_write_b128 v119, v[32:35] offset:32
	;; [unrolled: 1-line block ×4, first 2 shown]
	v_mul_lo_u16_sdwa v20, v115, s2 dst_sel:DWORD dst_unused:UNUSED_PAD src0_sel:BYTE_0 src1_sel:DWORD
	v_lshrrev_b16_e32 v36, 10, v20
	v_mul_lo_u16_e32 v20, 5, v36
	v_sub_u16_e32 v72, v115, v20
	v_mov_b32_e32 v20, 6
	v_lshlrev_b32_sdwa v37, v20, v72 dst_sel:DWORD dst_unused:UNUSED_PAD src0_sel:DWORD src1_sel:BYTE_0
	s_waitcnt lgkmcnt(0)
	s_barrier
	global_load_dwordx4 v[32:35], v37, s[14:15]
	global_load_dwordx4 v[28:31], v37, s[14:15] offset:16
	global_load_dwordx4 v[24:27], v37, s[14:15] offset:32
	;; [unrolled: 1-line block ×3, first 2 shown]
	v_mul_u32_u24_e32 v73, 25, v36
	ds_read_b128 v[36:39], v116 offset:560
	ds_read_b128 v[40:43], v116 offset:1120
	;; [unrolled: 1-line block ×4, first 2 shown]
	ds_read_b128 v[52:55], v116
	s_load_dwordx2 s[2:3], s[4:5], 0x38
	s_waitcnt vmcnt(0) lgkmcnt(0)
	s_barrier
	v_mul_f64 v[56:57], v[38:39], v[34:35]
	v_mul_f64 v[58:59], v[36:37], v[34:35]
	;; [unrolled: 1-line block ×8, first 2 shown]
	v_fma_f64 v[36:37], v[36:37], v[32:33], -v[56:57]
	v_fma_f64 v[38:39], v[38:39], v[32:33], v[58:59]
	v_fma_f64 v[40:41], v[40:41], v[28:29], -v[60:61]
	v_fma_f64 v[42:43], v[42:43], v[28:29], v[62:63]
	v_fma_f64 v[44:45], v[44:45], v[24:25], -v[64:65]
	v_fma_f64 v[48:49], v[48:49], v[20:21], -v[66:67]
	v_fma_f64 v[46:47], v[46:47], v[24:25], v[68:69]
	v_fma_f64 v[50:51], v[50:51], v[20:21], v[70:71]
	v_add_u32_sdwa v56, v73, v72 dst_sel:DWORD dst_unused:UNUSED_PAD src0_sel:DWORD src1_sel:BYTE_0
	v_lshl_add_u32 v120, v56, 4, v117
	v_add_f64 v[68:69], v[52:53], v[36:37]
	v_add_f64 v[70:71], v[54:55], v[38:39]
	;; [unrolled: 1-line block ×6, first 2 shown]
	v_add_f64 v[64:65], v[36:37], -v[40:41]
	v_add_f64 v[66:67], v[48:49], -v[44:45]
	;; [unrolled: 1-line block ×9, first 2 shown]
	v_fma_f64 v[56:57], v[56:57], -0.5, v[52:53]
	v_fma_f64 v[52:53], v[58:59], -0.5, v[52:53]
	v_add_f64 v[40:41], v[68:69], v[40:41]
	v_add_f64 v[42:43], v[70:71], v[42:43]
	v_fma_f64 v[58:59], v[60:61], -0.5, v[54:55]
	v_fma_f64 v[54:55], v[62:63], -0.5, v[54:55]
	v_add_f64 v[74:75], v[44:45], -v[48:49]
	v_add_f64 v[78:79], v[50:51], -v[46:47]
	;; [unrolled: 1-line block ×3, first 2 shown]
	v_add_f64 v[66:67], v[64:65], v[66:67]
	v_add_f64 v[40:41], v[40:41], v[44:45]
	;; [unrolled: 1-line block ×3, first 2 shown]
	v_fma_f64 v[44:45], v[38:39], s[16:17], v[56:57]
	v_fma_f64 v[46:47], v[38:39], s[20:21], v[56:57]
	;; [unrolled: 1-line block ×8, first 2 shown]
	v_add_f64 v[70:71], v[72:73], v[74:75]
	v_add_f64 v[78:79], v[76:77], v[78:79]
	v_add_f64 v[74:75], v[84:85], v[86:87]
	v_add_f64 v[60:61], v[40:41], v[48:49]
	v_add_f64 v[62:63], v[42:43], v[50:51]
	v_fma_f64 v[40:41], v[82:83], s[0:1], v[44:45]
	v_fma_f64 v[42:43], v[82:83], s[18:19], v[46:47]
	;; [unrolled: 1-line block ×16, first 2 shown]
	ds_write_b128 v120, v[60:63]
	ds_write_b128 v120, v[64:67] offset:80
	ds_write_b128 v120, v[68:71] offset:160
	ds_write_b128 v120, v[72:75] offset:240
	ds_write_b128 v120, v[76:79] offset:320
	s_waitcnt lgkmcnt(0)
	s_barrier
	s_waitcnt lgkmcnt(0)
                                        ; implicit-def: $vgpr80_vgpr81
                                        ; implicit-def: $vgpr84_vgpr85
	s_and_saveexec_b64 s[0:1], vcc
	s_cbranch_execz .LBB0_3
; %bb.2:
	ds_read_b128 v[60:63], v116
	ds_read_b128 v[64:67], v116 offset:400
	ds_read_b128 v[68:71], v116 offset:800
	;; [unrolled: 1-line block ×6, first 2 shown]
.LBB0_3:
	s_or_b64 exec, exec, s[0:1]
	v_subrev_u32_e32 v36, 25, v115
	v_cndmask_b32_e32 v36, v36, v115, vcc
	v_mul_hi_i32_i24_e32 v37, 0x60, v36
	v_mul_i32_i24_e32 v36, 0x60, v36
	v_mov_b32_e32 v38, s15
	v_add_co_u32_e64 v91, s[0:1], s14, v36
	v_addc_co_u32_e64 v92, s[0:1], v38, v37, s[0:1]
	global_load_dwordx4 v[44:47], v[91:92], off offset:320
	global_load_dwordx4 v[48:51], v[91:92], off offset:336
	;; [unrolled: 1-line block ×6, first 2 shown]
	s_mov_b32 s14, 0x37e14327
	s_mov_b32 s16, 0xe976ee23
	;; [unrolled: 1-line block ×16, first 2 shown]
	s_waitcnt vmcnt(5) lgkmcnt(5)
	v_mul_f64 v[91:92], v[66:67], v[46:47]
	v_mul_f64 v[93:94], v[64:65], v[46:47]
	s_waitcnt vmcnt(4) lgkmcnt(4)
	v_mul_f64 v[95:96], v[70:71], v[50:51]
	v_mul_f64 v[97:98], v[68:69], v[50:51]
	;; [unrolled: 3-line block ×3, first 2 shown]
	s_waitcnt vmcnt(0)
	v_mul_f64 v[111:112], v[82:83], v[58:59]
	v_mul_f64 v[113:114], v[80:81], v[58:59]
	;; [unrolled: 1-line block ×6, first 2 shown]
	v_fma_f64 v[64:65], v[64:65], v[44:45], -v[91:92]
	v_fma_f64 v[66:67], v[66:67], v[44:45], v[93:94]
	v_fma_f64 v[68:69], v[68:69], v[48:49], -v[95:96]
	v_fma_f64 v[70:71], v[70:71], v[48:49], v[97:98]
	;; [unrolled: 2-line block ×6, first 2 shown]
	v_add_f64 v[91:92], v[64:65], v[84:85]
	v_add_f64 v[93:94], v[66:67], v[86:87]
	v_add_f64 v[64:65], v[64:65], -v[84:85]
	v_add_f64 v[66:67], v[66:67], -v[86:87]
	v_add_f64 v[84:85], v[68:69], v[80:81]
	v_add_f64 v[86:87], v[70:71], v[82:83]
	v_add_f64 v[68:69], v[68:69], -v[80:81]
	v_add_f64 v[70:71], v[70:71], -v[82:83]
	v_add_f64 v[82:83], v[74:75], v[78:79]
	v_add_f64 v[95:96], v[76:77], -v[72:73]
	v_add_f64 v[78:79], v[78:79], -v[74:75]
	v_add_f64 v[80:81], v[72:73], v[76:77]
	v_add_f64 v[97:98], v[84:85], v[91:92]
	;; [unrolled: 1-line block ×3, first 2 shown]
	v_add_f64 v[74:75], v[86:87], -v[93:94]
	v_add_f64 v[72:73], v[84:85], -v[91:92]
	;; [unrolled: 1-line block ×4, first 2 shown]
	v_add_f64 v[101:102], v[78:79], v[70:71]
	v_add_f64 v[105:106], v[78:79], -v[70:71]
	v_add_f64 v[91:92], v[91:92], -v[80:81]
	;; [unrolled: 1-line block ×3, first 2 shown]
	v_add_f64 v[84:85], v[95:96], v[68:69]
	v_add_f64 v[68:69], v[68:69], -v[64:65]
	v_add_f64 v[70:71], v[70:71], -v[66:67]
	v_add_f64 v[80:81], v[80:81], v[97:98]
	v_add_f64 v[111:112], v[82:83], v[99:100]
	v_add_f64 v[107:108], v[64:65], -v[95:96]
	v_add_f64 v[109:110], v[66:67], -v[78:79]
	v_add_f64 v[97:98], v[101:102], v[66:67]
	v_mul_f64 v[66:67], v[93:94], s[14:15]
	v_mul_f64 v[93:94], v[103:104], s[16:17]
	;; [unrolled: 1-line block ×3, first 2 shown]
	v_add_f64 v[86:87], v[82:83], -v[86:87]
	v_add_f64 v[95:96], v[84:85], v[64:65]
	v_mul_f64 v[64:65], v[91:92], s[14:15]
	v_mul_f64 v[99:100], v[68:69], s[18:19]
	;; [unrolled: 1-line block ×3, first 2 shown]
	v_add_f64 v[68:69], v[60:61], v[80:81]
	v_add_f64 v[70:71], v[62:63], v[111:112]
	v_fma_f64 v[84:85], v[107:108], s[22:23], v[93:94]
	v_fma_f64 v[91:92], v[109:110], s[22:23], v[78:79]
	s_mov_b32 s23, 0xbfd5d0dc
	v_fma_f64 v[60:61], v[72:73], s[6:7], -v[64:65]
	v_fma_f64 v[62:63], v[74:75], s[6:7], -v[66:67]
	;; [unrolled: 1-line block ×4, first 2 shown]
	v_fma_f64 v[107:108], v[80:81], s[20:21], v[68:69]
	v_fma_f64 v[111:112], v[111:112], s[20:21], v[70:71]
	;; [unrolled: 1-line block ×8, first 2 shown]
	v_add_f64 v[105:106], v[60:61], v[107:108]
	v_add_f64 v[113:114], v[62:63], v[111:112]
	;; [unrolled: 1-line block ×4, first 2 shown]
	v_add_f64 v[60:61], v[105:106], -v[101:102]
	v_add_f64 v[62:63], v[109:110], v[113:114]
	v_add_f64 v[64:65], v[91:92], -v[80:81]
	v_add_f64 v[66:67], v[84:85], v[103:104]
	s_and_saveexec_b64 s[14:15], vcc
	s_cbranch_execz .LBB0_5
; %bb.4:
	s_mov_b32 s7, 0x3fe77f67
	v_mul_f64 v[86:87], v[86:87], s[0:1]
	v_mul_f64 v[74:75], v[74:75], s[6:7]
	;; [unrolled: 1-line block ×6, first 2 shown]
	v_add_f64 v[93:94], v[99:100], -v[93:94]
	v_add_f64 v[78:79], v[82:83], -v[78:79]
	ds_write_b128 v116, v[68:71]
	v_add_f64 v[74:75], v[74:75], -v[86:87]
	v_lshl_add_u32 v68, v115, 4, v117
	v_add_f64 v[72:73], v[72:73], -v[76:77]
	v_add_f64 v[76:77], v[80:81], v[91:92]
	v_add_f64 v[86:87], v[95:96], v[93:94]
	;; [unrolled: 1-line block ×3, first 2 shown]
	v_add_f64 v[78:79], v[103:104], -v[84:85]
	v_add_f64 v[93:94], v[74:75], v[111:112]
	v_add_f64 v[74:75], v[113:114], -v[109:110]
	v_add_f64 v[97:98], v[72:73], v[107:108]
	v_add_f64 v[72:73], v[101:102], v[105:106]
	v_add_f64 v[82:83], v[93:94], -v[86:87]
	v_add_f64 v[86:87], v[86:87], v[93:94]
	v_add_f64 v[84:85], v[97:98], -v[95:96]
	v_add_f64 v[80:81], v[95:96], v[97:98]
	ds_write_b128 v68, v[60:63] offset:2000
	ds_write_b128 v68, v[76:79] offset:400
	;; [unrolled: 1-line block ×6, first 2 shown]
.LBB0_5:
	s_or_b64 exec, exec, s[14:15]
	s_waitcnt lgkmcnt(0)
	s_barrier
	global_load_dwordx4 v[68:71], v[89:90], off offset:2800
	s_add_u32 s0, s12, 0xaf0
	s_addc_u32 s1, s13, 0
	global_load_dwordx4 v[72:75], v118, s[0:1] offset:560
	global_load_dwordx4 v[76:79], v118, s[0:1] offset:1120
	global_load_dwordx4 v[80:83], v118, s[0:1] offset:1680
	global_load_dwordx4 v[84:87], v118, s[0:1] offset:2240
	ds_read_b128 v[89:92], v116
	ds_read_b128 v[93:96], v116 offset:560
	ds_read_b128 v[97:100], v116 offset:1120
	;; [unrolled: 1-line block ×4, first 2 shown]
	s_mov_b32 s4, 0x134454ff
	s_mov_b32 s5, 0xbfee6f0e
	;; [unrolled: 1-line block ×10, first 2 shown]
	s_waitcnt vmcnt(3) lgkmcnt(3)
	v_mul_f64 v[111:112], v[95:96], v[74:75]
	v_mul_f64 v[109:110], v[91:92], v[70:71]
	;; [unrolled: 1-line block ×4, first 2 shown]
	s_waitcnt vmcnt(2) lgkmcnt(2)
	v_mul_f64 v[113:114], v[99:100], v[78:79]
	v_mul_f64 v[78:79], v[97:98], v[78:79]
	s_waitcnt vmcnt(1) lgkmcnt(1)
	v_mul_f64 v[121:122], v[103:104], v[82:83]
	v_mul_f64 v[82:83], v[101:102], v[82:83]
	;; [unrolled: 3-line block ×3, first 2 shown]
	v_fma_f64 v[89:90], v[89:90], v[68:69], -v[109:110]
	v_fma_f64 v[91:92], v[91:92], v[68:69], v[70:71]
	v_fma_f64 v[68:69], v[93:94], v[72:73], -v[111:112]
	v_fma_f64 v[70:71], v[95:96], v[72:73], v[74:75]
	;; [unrolled: 2-line block ×5, first 2 shown]
	ds_write_b128 v116, v[89:92]
	ds_write_b128 v116, v[68:71] offset:560
	ds_write_b128 v116, v[72:75] offset:1120
	;; [unrolled: 1-line block ×4, first 2 shown]
	s_waitcnt lgkmcnt(0)
	s_barrier
	ds_read_b128 v[68:71], v116
	ds_read_b128 v[72:75], v116 offset:560
	ds_read_b128 v[76:79], v116 offset:1120
	;; [unrolled: 1-line block ×4, first 2 shown]
	s_waitcnt lgkmcnt(0)
	v_add_f64 v[89:90], v[68:69], v[72:73]
	v_add_f64 v[97:98], v[72:73], -v[76:77]
	v_add_f64 v[91:92], v[76:77], v[80:81]
	v_add_f64 v[99:100], v[84:85], -v[80:81]
	v_add_f64 v[107:108], v[70:71], v[74:75]
	v_add_f64 v[109:110], v[78:79], v[82:83]
	;; [unrolled: 1-line block ×4, first 2 shown]
	v_add_f64 v[93:94], v[74:75], -v[86:87]
	v_add_f64 v[95:96], v[78:79], -v[82:83]
	;; [unrolled: 1-line block ×9, first 2 shown]
	v_add_f64 v[76:77], v[89:90], v[76:77]
	v_fma_f64 v[89:90], v[91:92], -0.5, v[68:69]
	v_add_f64 v[91:92], v[97:98], v[99:100]
	v_add_f64 v[78:79], v[107:108], v[78:79]
	v_fma_f64 v[99:100], v[109:110], -0.5, v[70:71]
	v_fma_f64 v[68:69], v[101:102], -0.5, v[68:69]
	;; [unrolled: 1-line block ×3, first 2 shown]
	v_add_f64 v[121:122], v[86:87], -v[82:83]
	v_add_f64 v[97:98], v[103:104], v[105:106]
	v_add_f64 v[103:104], v[74:75], v[125:126]
	;; [unrolled: 1-line block ×3, first 2 shown]
	v_fma_f64 v[76:77], v[93:94], s[4:5], v[89:90]
	v_add_f64 v[78:79], v[78:79], v[82:83]
	v_fma_f64 v[82:83], v[72:73], s[14:15], v[99:100]
	v_fma_f64 v[80:81], v[93:94], s[14:15], v[89:90]
	;; [unrolled: 1-line block ×7, first 2 shown]
	v_add_f64 v[101:102], v[113:114], v[121:122]
	v_add_f64 v[68:69], v[74:75], v[84:85]
	v_fma_f64 v[74:75], v[95:96], s[0:1], v[76:77]
	v_add_f64 v[70:71], v[78:79], v[86:87]
	v_fma_f64 v[78:79], v[111:112], s[12:13], v[82:83]
	v_fma_f64 v[76:77], v[95:96], s[12:13], v[80:81]
	;; [unrolled: 1-line block ×15, first 2 shown]
	s_barrier
	ds_write_b128 v119, v[68:71]
	ds_write_b128 v119, v[72:75] offset:16
	ds_write_b128 v119, v[80:83] offset:32
	;; [unrolled: 1-line block ×4, first 2 shown]
	s_waitcnt lgkmcnt(0)
	s_barrier
	ds_read_b128 v[68:71], v116 offset:560
	ds_read_b128 v[72:75], v116
	ds_read_b128 v[76:79], v116 offset:1120
	ds_read_b128 v[80:83], v116 offset:1680
	;; [unrolled: 1-line block ×3, first 2 shown]
	s_waitcnt lgkmcnt(4)
	v_mul_f64 v[89:90], v[34:35], v[70:71]
	v_mul_f64 v[34:35], v[34:35], v[68:69]
	s_waitcnt lgkmcnt(2)
	v_mul_f64 v[91:92], v[30:31], v[78:79]
	v_mul_f64 v[30:31], v[30:31], v[76:77]
	s_waitcnt lgkmcnt(1)
	v_mul_f64 v[93:94], v[26:27], v[82:83]
	s_waitcnt lgkmcnt(0)
	v_mul_f64 v[95:96], v[22:23], v[84:85]
	v_mul_f64 v[26:27], v[26:27], v[80:81]
	;; [unrolled: 1-line block ×3, first 2 shown]
	v_fma_f64 v[68:69], v[32:33], v[68:69], v[89:90]
	v_fma_f64 v[32:33], v[32:33], v[70:71], -v[34:35]
	v_fma_f64 v[34:35], v[28:29], v[76:77], v[91:92]
	v_fma_f64 v[28:29], v[28:29], v[78:79], -v[30:31]
	;; [unrolled: 2-line block ×3, first 2 shown]
	v_fma_f64 v[24:25], v[24:25], v[82:83], -v[26:27]
	v_fma_f64 v[20:21], v[20:21], v[84:85], v[22:23]
	v_add_f64 v[22:23], v[72:73], v[68:69]
	v_add_f64 v[91:92], v[74:75], v[32:33]
	v_add_f64 v[80:81], v[68:69], -v[34:35]
	v_add_f64 v[86:87], v[34:35], -v[68:69]
	v_add_f64 v[26:27], v[34:35], v[30:31]
	v_add_f64 v[101:102], v[32:33], v[70:71]
	;; [unrolled: 1-line block ×3, first 2 shown]
	v_add_f64 v[82:83], v[20:21], -v[30:31]
	v_add_f64 v[84:85], v[68:69], v[20:21]
	v_add_f64 v[76:77], v[32:33], -v[70:71]
	v_add_f64 v[78:79], v[28:29], -v[24:25]
	;; [unrolled: 1-line block ×8, first 2 shown]
	v_add_f64 v[22:23], v[22:23], v[34:35]
	v_fma_f64 v[26:27], v[26:27], -0.5, v[72:73]
	v_add_f64 v[34:35], v[80:81], v[82:83]
	v_fma_f64 v[72:73], v[84:85], -0.5, v[72:73]
	;; [unrolled: 2-line block ×3, first 2 shown]
	v_fma_f64 v[74:75], v[101:102], -0.5, v[74:75]
	v_add_f64 v[99:100], v[70:71], -v[24:25]
	v_add_f64 v[80:81], v[86:87], v[89:90]
	v_add_f64 v[86:87], v[32:33], v[103:104]
	;; [unrolled: 1-line block ×3, first 2 shown]
	v_fma_f64 v[30:31], v[76:77], s[4:5], v[26:27]
	v_fma_f64 v[26:27], v[76:77], s[14:15], v[26:27]
	;; [unrolled: 1-line block ×4, first 2 shown]
	v_add_f64 v[89:90], v[28:29], v[24:25]
	v_fma_f64 v[24:25], v[68:69], s[14:15], v[82:83]
	v_fma_f64 v[28:29], v[68:69], s[4:5], v[82:83]
	;; [unrolled: 1-line block ×4, first 2 shown]
	v_add_f64 v[84:85], v[97:98], v[99:100]
	v_add_f64 v[20:21], v[22:23], v[20:21]
	v_fma_f64 v[22:23], v[78:79], s[0:1], v[30:31]
	v_fma_f64 v[26:27], v[78:79], s[12:13], v[26:27]
	;; [unrolled: 1-line block ×12, first 2 shown]
	v_add_f64 v[22:23], v[89:90], v[70:71]
	v_fma_f64 v[26:27], v[84:85], s[6:7], v[76:77]
	v_fma_f64 v[34:35], v[86:87], s[6:7], v[82:83]
	v_fma_f64 v[30:31], v[86:87], s[6:7], v[74:75]
	v_fma_f64 v[70:71], v[84:85], s[6:7], v[78:79]
	s_barrier
	ds_write_b128 v120, v[20:23]
	ds_write_b128 v120, v[24:27] offset:80
	ds_write_b128 v120, v[32:35] offset:160
	;; [unrolled: 1-line block ×4, first 2 shown]
	s_waitcnt lgkmcnt(0)
	s_barrier
	s_and_saveexec_b64 s[0:1], vcc
	s_cbranch_execz .LBB0_7
; %bb.6:
	ds_read_b128 v[20:23], v116
	ds_read_b128 v[24:27], v116 offset:400
	ds_read_b128 v[32:35], v116 offset:800
	;; [unrolled: 1-line block ×6, first 2 shown]
.LBB0_7:
	s_or_b64 exec, exec, s[0:1]
	s_and_saveexec_b64 s[0:1], vcc
	s_cbranch_execz .LBB0_9
; %bb.8:
	s_waitcnt lgkmcnt(5)
	v_mul_f64 v[72:73], v[46:47], v[26:27]
	s_waitcnt lgkmcnt(0)
	v_mul_f64 v[74:75], v[54:55], v[66:67]
	v_mul_f64 v[76:77], v[38:39], v[70:71]
	;; [unrolled: 1-line block ×9, first 2 shown]
	v_fma_f64 v[76:77], v[36:37], v[68:69], v[76:77]
	v_fma_f64 v[78:79], v[40:41], v[28:29], v[78:79]
	;; [unrolled: 1-line block ×4, first 2 shown]
	v_fma_f64 v[54:55], v[52:53], v[66:67], -v[54:55]
	v_fma_f64 v[26:27], v[44:45], v[26:27], -v[46:47]
	;; [unrolled: 1-line block ×4, first 2 shown]
	v_mul_f64 v[28:29], v[42:43], v[28:29]
	v_mul_f64 v[38:39], v[38:39], v[68:69]
	v_fma_f64 v[24:25], v[44:45], v[24:25], v[72:73]
	v_fma_f64 v[42:43], v[52:53], v[64:65], v[74:75]
	v_add_f64 v[44:45], v[76:77], -v[78:79]
	v_add_f64 v[48:49], v[32:33], -v[60:61]
	v_add_f64 v[50:51], v[26:27], v[54:55]
	v_add_f64 v[52:53], v[34:35], v[46:47]
	v_fma_f64 v[28:29], v[40:41], v[30:31], -v[28:29]
	v_fma_f64 v[30:31], v[36:37], v[70:71], -v[38:39]
	s_mov_b32 s6, 0xe976ee23
	v_add_f64 v[36:37], v[24:25], -v[42:43]
	s_mov_b32 s7, 0x3fe11646
	v_add_f64 v[38:39], v[44:45], -v[48:49]
	s_mov_b32 s12, 0x37e14327
	v_add_f64 v[40:41], v[52:53], v[50:51]
	s_mov_b32 s5, 0xbfd5d0dc
	v_add_f64 v[56:57], v[28:29], v[30:31]
	s_mov_b32 s4, 0xb247c609
	v_add_f64 v[58:59], v[36:37], -v[44:45]
	v_add_f64 v[44:45], v[44:45], v[48:49]
	v_mul_f64 v[38:39], v[38:39], s[6:7]
	s_mov_b32 s13, 0x3fe948f6
	v_add_f64 v[24:25], v[24:25], v[42:43]
	v_add_f64 v[32:33], v[32:33], v[60:61]
	;; [unrolled: 1-line block ×3, first 2 shown]
	v_add_f64 v[62:63], v[50:51], -v[56:57]
	v_add_f64 v[56:57], v[56:57], -v[52:53]
	v_add_f64 v[44:45], v[44:45], v[36:37]
	v_fma_f64 v[42:43], v[58:59], s[4:5], v[38:39]
	v_add_f64 v[28:29], v[30:31], -v[28:29]
	v_add_f64 v[30:31], v[34:35], -v[46:47]
	s_mov_b32 s14, 0xaaaaaaaa
	v_add_f64 v[22:23], v[22:23], v[40:41]
	v_mul_f64 v[60:61], v[62:63], s[12:13]
	s_mov_b32 s16, 0x36b3c0b5
	s_mov_b32 s18, 0x37c3f68c
	;; [unrolled: 1-line block ×5, first 2 shown]
	v_add_f64 v[62:63], v[32:33], v[24:25]
	v_add_f64 v[64:65], v[78:79], v[76:77]
	v_fma_f64 v[40:41], v[40:41], s[14:15], v[22:23]
	v_fma_f64 v[34:35], v[56:57], s[16:17], v[60:61]
	;; [unrolled: 1-line block ×3, first 2 shown]
	v_add_f64 v[42:43], v[26:27], -v[54:55]
	v_add_f64 v[26:27], v[28:29], -v[30:31]
	;; [unrolled: 1-line block ×4, first 2 shown]
	v_add_f64 v[46:47], v[64:65], v[62:63]
	v_add_f64 v[62:63], v[24:25], -v[64:65]
	v_add_f64 v[54:55], v[34:35], v[40:41]
	v_add_f64 v[34:35], v[64:65], -v[32:33]
	v_add_f64 v[48:49], v[42:43], -v[28:29]
	v_mul_f64 v[64:65], v[26:27], s[6:7]
	s_mov_b32 s6, 0x429ad128
	s_mov_b32 s7, 0xbfebfeb5
	v_mul_f64 v[70:71], v[36:37], s[6:7]
	v_add_f64 v[52:53], v[30:31], -v[42:43]
	v_mul_f64 v[62:63], v[62:63], s[12:13]
	v_add_f64 v[24:25], v[32:33], -v[24:25]
	v_add_f64 v[20:21], v[20:21], v[46:47]
	v_mul_f64 v[56:57], v[56:57], s[16:17]
	v_fma_f64 v[72:73], v[48:49], s[4:5], v[64:65]
	v_add_f64 v[28:29], v[28:29], v[30:31]
	s_mov_b32 s5, 0x3fd5d0dc
	v_fma_f64 v[30:31], v[58:59], s[4:5], -v[70:71]
	v_mul_f64 v[58:59], v[52:53], s[6:7]
	v_mul_f64 v[68:69], v[34:35], s[16:17]
	s_mov_b32 s13, 0xbfe77f67
	s_mov_b32 s12, 0x5476071b
	v_fma_f64 v[32:33], v[50:51], s[12:13], -v[60:61]
	v_fma_f64 v[60:61], v[24:25], s[12:13], -v[62:63]
	s_mov_b32 s13, 0x3fe77f67
	v_fma_f64 v[46:47], v[46:47], s[14:15], v[20:21]
	v_fma_f64 v[34:35], v[34:35], s[16:17], v[62:63]
	v_fma_f64 v[50:51], v[50:51], s[12:13], -v[56:57]
	v_add_f64 v[28:29], v[28:29], v[42:43]
	v_fma_f64 v[36:37], v[36:37], s[6:7], -v[38:39]
	v_fma_f64 v[42:43], v[44:45], s[18:19], v[30:31]
	v_fma_f64 v[30:31], v[48:49], s[4:5], -v[58:59]
	v_fma_f64 v[24:25], v[24:25], s[12:13], -v[68:69]
	;; [unrolled: 1-line block ×3, first 2 shown]
	v_add_f64 v[32:33], v[32:33], v[40:41]
	v_add_f64 v[40:41], v[50:51], v[40:41]
	;; [unrolled: 1-line block ×3, first 2 shown]
	v_fma_f64 v[50:51], v[28:29], s[18:19], v[72:73]
	v_fma_f64 v[36:37], v[44:45], s[18:19], v[36:37]
	v_add_f64 v[52:53], v[60:61], v[46:47]
	v_fma_f64 v[56:57], v[28:29], s[18:19], v[30:31]
	v_add_f64 v[24:25], v[24:25], v[46:47]
	v_fma_f64 v[28:29], v[28:29], s[18:19], v[38:39]
	v_add_f64 v[46:47], v[54:55], -v[66:67]
	v_add_f64 v[30:31], v[42:43], v[32:33]
	v_add_f64 v[44:45], v[50:51], v[48:49]
	v_add_f64 v[34:35], v[40:41], -v[36:37]
	v_add_f64 v[38:39], v[36:37], v[40:41]
	v_add_f64 v[42:43], v[32:33], -v[42:43]
	;; [unrolled: 2-line block ×5, first 2 shown]
	ds_write_b128 v116, v[20:23]
	v_lshl_add_u32 v20, v115, 4, v117
	ds_write_b128 v20, v[44:47] offset:400
	ds_write_b128 v20, v[40:43] offset:800
	;; [unrolled: 1-line block ×6, first 2 shown]
.LBB0_9:
	s_or_b64 exec, exec, s[0:1]
	s_waitcnt lgkmcnt(0)
	s_barrier
	ds_read_b128 v[20:23], v116
	ds_read_b128 v[24:27], v116 offset:560
	v_mad_u64_u32 v[28:29], s[0:1], s10, v88, 0
	s_waitcnt lgkmcnt(1)
	v_mul_f64 v[30:31], v[18:19], v[22:23]
	v_mul_f64 v[18:19], v[18:19], v[20:21]
	v_mad_u64_u32 v[32:33], s[0:1], s11, v88, v[29:30]
	v_mad_u64_u32 v[33:34], s[0:1], s8, v115, 0
	v_fma_f64 v[20:21], v[16:17], v[20:21], v[30:31]
	v_fma_f64 v[18:19], v[16:17], v[22:23], -v[18:19]
	v_mov_b32_e32 v16, v34
	v_mad_u64_u32 v[22:23], s[0:1], s9, v115, v[16:17]
	s_mov_b32 s0, 0xe434a9b1
	s_mov_b32 s1, 0x3f7767dc
	v_mov_b32_e32 v34, v22
	s_waitcnt lgkmcnt(0)
	v_mul_f64 v[22:23], v[10:11], v[26:27]
	v_mul_f64 v[10:11], v[10:11], v[24:25]
	v_mov_b32_e32 v29, v32
	v_mul_f64 v[16:17], v[20:21], s[0:1]
	v_mul_f64 v[18:19], v[18:19], s[0:1]
	v_lshlrev_b64 v[20:21], 4, v[28:29]
	v_mov_b32_e32 v28, s3
	v_add_co_u32_e32 v29, vcc, s2, v20
	v_fma_f64 v[22:23], v[8:9], v[24:25], v[22:23]
	v_fma_f64 v[24:25], v[8:9], v[26:27], -v[10:11]
	ds_read_b128 v[8:11], v116 offset:1120
	v_addc_co_u32_e32 v28, vcc, v28, v21, vcc
	v_lshlrev_b64 v[20:21], 4, v[33:34]
	s_mul_i32 s2, s9, 0x230
	v_add_co_u32_e32 v26, vcc, v29, v20
	v_addc_co_u32_e32 v27, vcc, v28, v21, vcc
	global_store_dwordx4 v[26:27], v[16:19], off
	s_mul_hi_u32 s3, s8, 0x230
	v_mul_f64 v[16:17], v[22:23], s[0:1]
	ds_read_b128 v[20:23], v116 offset:1680
	s_waitcnt lgkmcnt(1)
	v_mul_f64 v[28:29], v[14:15], v[10:11]
	v_mul_f64 v[14:15], v[14:15], v[8:9]
	v_mul_f64 v[18:19], v[24:25], s[0:1]
	s_add_i32 s2, s3, s2
	s_mul_i32 s3, s8, 0x230
	v_mov_b32_e32 v30, s2
	v_add_co_u32_e32 v26, vcc, s3, v26
	v_fma_f64 v[24:25], v[12:13], v[8:9], v[28:29]
	v_fma_f64 v[14:15], v[12:13], v[10:11], -v[14:15]
	ds_read_b128 v[8:11], v116 offset:2240
	s_waitcnt lgkmcnt(1)
	v_mul_f64 v[28:29], v[2:3], v[22:23]
	v_mul_f64 v[2:3], v[2:3], v[20:21]
	v_addc_co_u32_e32 v27, vcc, v27, v30, vcc
	s_waitcnt lgkmcnt(0)
	v_mul_f64 v[30:31], v[6:7], v[10:11]
	v_mul_f64 v[6:7], v[6:7], v[8:9]
	global_store_dwordx4 v[26:27], v[16:19], off
	v_mul_f64 v[12:13], v[24:25], s[0:1]
	v_fma_f64 v[16:17], v[0:1], v[20:21], v[28:29]
	v_fma_f64 v[2:3], v[0:1], v[22:23], -v[2:3]
	v_mul_f64 v[14:15], v[14:15], s[0:1]
	v_mov_b32_e32 v18, s2
	v_fma_f64 v[8:9], v[4:5], v[8:9], v[30:31]
	v_fma_f64 v[6:7], v[4:5], v[10:11], -v[6:7]
	v_add_co_u32_e32 v10, vcc, s3, v26
	v_mul_f64 v[0:1], v[16:17], s[0:1]
	v_mul_f64 v[2:3], v[2:3], s[0:1]
	v_addc_co_u32_e32 v11, vcc, v27, v18, vcc
	v_mul_f64 v[4:5], v[8:9], s[0:1]
	v_mul_f64 v[6:7], v[6:7], s[0:1]
	global_store_dwordx4 v[10:11], v[12:15], off
	v_add_co_u32_e32 v8, vcc, s3, v10
	v_mov_b32_e32 v12, s2
	v_addc_co_u32_e32 v9, vcc, v11, v12, vcc
	global_store_dwordx4 v[8:9], v[0:3], off
	s_nop 0
	v_mov_b32_e32 v1, s2
	v_add_co_u32_e32 v0, vcc, s3, v8
	v_addc_co_u32_e32 v1, vcc, v9, v1, vcc
	global_store_dwordx4 v[0:1], v[4:7], off
.LBB0_10:
	s_endpgm
	.section	.rodata,"a",@progbits
	.p2align	6, 0x0
	.amdhsa_kernel bluestein_single_back_len175_dim1_dp_op_CI_CI
		.amdhsa_group_segment_fixed_size 19600
		.amdhsa_private_segment_fixed_size 0
		.amdhsa_kernarg_size 104
		.amdhsa_user_sgpr_count 6
		.amdhsa_user_sgpr_private_segment_buffer 1
		.amdhsa_user_sgpr_dispatch_ptr 0
		.amdhsa_user_sgpr_queue_ptr 0
		.amdhsa_user_sgpr_kernarg_segment_ptr 1
		.amdhsa_user_sgpr_dispatch_id 0
		.amdhsa_user_sgpr_flat_scratch_init 0
		.amdhsa_user_sgpr_private_segment_size 0
		.amdhsa_uses_dynamic_stack 0
		.amdhsa_system_sgpr_private_segment_wavefront_offset 0
		.amdhsa_system_sgpr_workgroup_id_x 1
		.amdhsa_system_sgpr_workgroup_id_y 0
		.amdhsa_system_sgpr_workgroup_id_z 0
		.amdhsa_system_sgpr_workgroup_info 0
		.amdhsa_system_vgpr_workitem_id 0
		.amdhsa_next_free_vgpr 127
		.amdhsa_next_free_sgpr 24
		.amdhsa_reserve_vcc 1
		.amdhsa_reserve_flat_scratch 0
		.amdhsa_float_round_mode_32 0
		.amdhsa_float_round_mode_16_64 0
		.amdhsa_float_denorm_mode_32 3
		.amdhsa_float_denorm_mode_16_64 3
		.amdhsa_dx10_clamp 1
		.amdhsa_ieee_mode 1
		.amdhsa_fp16_overflow 0
		.amdhsa_exception_fp_ieee_invalid_op 0
		.amdhsa_exception_fp_denorm_src 0
		.amdhsa_exception_fp_ieee_div_zero 0
		.amdhsa_exception_fp_ieee_overflow 0
		.amdhsa_exception_fp_ieee_underflow 0
		.amdhsa_exception_fp_ieee_inexact 0
		.amdhsa_exception_int_div_zero 0
	.end_amdhsa_kernel
	.text
.Lfunc_end0:
	.size	bluestein_single_back_len175_dim1_dp_op_CI_CI, .Lfunc_end0-bluestein_single_back_len175_dim1_dp_op_CI_CI
                                        ; -- End function
	.section	.AMDGPU.csdata,"",@progbits
; Kernel info:
; codeLenInByte = 6576
; NumSgprs: 28
; NumVgprs: 127
; ScratchSize: 0
; MemoryBound: 0
; FloatMode: 240
; IeeeMode: 1
; LDSByteSize: 19600 bytes/workgroup (compile time only)
; SGPRBlocks: 3
; VGPRBlocks: 31
; NumSGPRsForWavesPerEU: 28
; NumVGPRsForWavesPerEU: 127
; Occupancy: 2
; WaveLimiterHint : 1
; COMPUTE_PGM_RSRC2:SCRATCH_EN: 0
; COMPUTE_PGM_RSRC2:USER_SGPR: 6
; COMPUTE_PGM_RSRC2:TRAP_HANDLER: 0
; COMPUTE_PGM_RSRC2:TGID_X_EN: 1
; COMPUTE_PGM_RSRC2:TGID_Y_EN: 0
; COMPUTE_PGM_RSRC2:TGID_Z_EN: 0
; COMPUTE_PGM_RSRC2:TIDIG_COMP_CNT: 0
	.type	__hip_cuid_50eae8cf228bb9e0,@object ; @__hip_cuid_50eae8cf228bb9e0
	.section	.bss,"aw",@nobits
	.globl	__hip_cuid_50eae8cf228bb9e0
__hip_cuid_50eae8cf228bb9e0:
	.byte	0                               ; 0x0
	.size	__hip_cuid_50eae8cf228bb9e0, 1

	.ident	"AMD clang version 19.0.0git (https://github.com/RadeonOpenCompute/llvm-project roc-6.4.0 25133 c7fe45cf4b819c5991fe208aaa96edf142730f1d)"
	.section	".note.GNU-stack","",@progbits
	.addrsig
	.addrsig_sym __hip_cuid_50eae8cf228bb9e0
	.amdgpu_metadata
---
amdhsa.kernels:
  - .args:
      - .actual_access:  read_only
        .address_space:  global
        .offset:         0
        .size:           8
        .value_kind:     global_buffer
      - .actual_access:  read_only
        .address_space:  global
        .offset:         8
        .size:           8
        .value_kind:     global_buffer
      - .actual_access:  read_only
        .address_space:  global
        .offset:         16
        .size:           8
        .value_kind:     global_buffer
      - .actual_access:  read_only
        .address_space:  global
        .offset:         24
        .size:           8
        .value_kind:     global_buffer
      - .actual_access:  read_only
        .address_space:  global
        .offset:         32
        .size:           8
        .value_kind:     global_buffer
      - .offset:         40
        .size:           8
        .value_kind:     by_value
      - .address_space:  global
        .offset:         48
        .size:           8
        .value_kind:     global_buffer
      - .address_space:  global
        .offset:         56
        .size:           8
        .value_kind:     global_buffer
      - .address_space:  global
        .offset:         64
        .size:           8
        .value_kind:     global_buffer
      - .address_space:  global
        .offset:         72
        .size:           8
        .value_kind:     global_buffer
      - .offset:         80
        .size:           4
        .value_kind:     by_value
      - .address_space:  global
        .offset:         88
        .size:           8
        .value_kind:     global_buffer
      - .address_space:  global
        .offset:         96
        .size:           8
        .value_kind:     global_buffer
    .group_segment_fixed_size: 19600
    .kernarg_segment_align: 8
    .kernarg_segment_size: 104
    .language:       OpenCL C
    .language_version:
      - 2
      - 0
    .max_flat_workgroup_size: 245
    .name:           bluestein_single_back_len175_dim1_dp_op_CI_CI
    .private_segment_fixed_size: 0
    .sgpr_count:     28
    .sgpr_spill_count: 0
    .symbol:         bluestein_single_back_len175_dim1_dp_op_CI_CI.kd
    .uniform_work_group_size: 1
    .uses_dynamic_stack: false
    .vgpr_count:     127
    .vgpr_spill_count: 0
    .wavefront_size: 64
amdhsa.target:   amdgcn-amd-amdhsa--gfx906
amdhsa.version:
  - 1
  - 2
...

	.end_amdgpu_metadata
